;; amdgpu-corpus repo=ROCm/rocFFT kind=compiled arch=gfx906 opt=O3
	.text
	.amdgcn_target "amdgcn-amd-amdhsa--gfx906"
	.amdhsa_code_object_version 6
	.protected	fft_rtc_fwd_len72_factors_8_3_3_wgs_384_tpt_24_half_op_CI_CI_sbcc_twdbase8_3step ; -- Begin function fft_rtc_fwd_len72_factors_8_3_3_wgs_384_tpt_24_half_op_CI_CI_sbcc_twdbase8_3step
	.globl	fft_rtc_fwd_len72_factors_8_3_3_wgs_384_tpt_24_half_op_CI_CI_sbcc_twdbase8_3step
	.p2align	8
	.type	fft_rtc_fwd_len72_factors_8_3_3_wgs_384_tpt_24_half_op_CI_CI_sbcc_twdbase8_3step,@function
fft_rtc_fwd_len72_factors_8_3_3_wgs_384_tpt_24_half_op_CI_CI_sbcc_twdbase8_3step: ; @fft_rtc_fwd_len72_factors_8_3_3_wgs_384_tpt_24_half_op_CI_CI_sbcc_twdbase8_3step
; %bb.0:
	s_load_dwordx4 s[0:3], s[4:5], 0x18
	s_load_dwordx2 s[30:31], s[4:5], 0x28
	s_mov_b32 s7, 0
	s_mov_b64 s[24:25], 0
	s_waitcnt lgkmcnt(0)
	s_load_dwordx2 s[28:29], s[0:1], 0x8
	s_waitcnt lgkmcnt(0)
	s_add_u32 s8, s28, -1
	s_addc_u32 s9, s29, -1
	s_lshr_b64 s[8:9], s[8:9], 4
	s_add_u32 s34, s8, 1
	s_addc_u32 s35, s9, 0
	v_mov_b32_e32 v1, s34
	v_mov_b32_e32 v2, s35
	v_cmp_lt_u64_e32 vcc, s[6:7], v[1:2]
	s_cbranch_vccnz .LBB0_2
; %bb.1:
	v_cvt_f32_u32_e32 v1, s34
	s_sub_i32 s8, 0, s34
	s_mov_b32 s25, s7
	v_rcp_iflag_f32_e32 v1, v1
	v_mul_f32_e32 v1, 0x4f7ffffe, v1
	v_cvt_u32_f32_e32 v1, v1
	v_readfirstlane_b32 s9, v1
	s_mul_i32 s8, s8, s9
	s_mul_hi_u32 s8, s9, s8
	s_add_i32 s9, s9, s8
	s_mul_hi_u32 s8, s6, s9
	s_mul_i32 s10, s8, s34
	s_sub_i32 s10, s6, s10
	s_add_i32 s9, s8, 1
	s_sub_i32 s11, s10, s34
	s_cmp_ge_u32 s10, s34
	s_cselect_b32 s8, s9, s8
	s_cselect_b32 s10, s11, s10
	s_add_i32 s9, s8, 1
	s_cmp_ge_u32 s10, s34
	s_cselect_b32 s24, s9, s8
.LBB0_2:
	s_mul_i32 s16, s24, s35
	s_mul_hi_u32 s17, s24, s34
	s_load_dwordx4 s[12:15], s[4:5], 0x60
	s_load_dwordx4 s[20:23], s[2:3], 0x0
	;; [unrolled: 1-line block ×3, first 2 shown]
	s_add_i32 s17, s17, s16
	s_mul_i32 s16, s24, s34
	s_sub_u32 s36, s6, s16
	s_subb_u32 s37, 0, s17
	v_mov_b32_e32 v1, s36
	v_alignbit_b32 v1, s37, v1, 28
	s_waitcnt lgkmcnt(0)
	v_mul_lo_u32 v2, s22, v1
	s_load_dwordx2 s[26:27], s[4:5], 0x0
	s_load_dwordx4 s[16:19], s[4:5], 0x8
	s_lshl_b64 s[4:5], s[36:37], 4
	s_mul_hi_u32 s33, s22, s4
	v_mul_lo_u32 v1, s10, v1
	v_add_u32_e32 v2, s33, v2
	s_mul_i32 s33, s23, s4
	v_add_u32_e32 v4, s33, v2
	s_mul_i32 s33, s22, s4
	v_mov_b32_e32 v3, s33
	s_mul_hi_u32 s33, s10, s4
	v_add_u32_e32 v1, s33, v1
	s_mul_i32 s33, s11, s4
	s_waitcnt lgkmcnt(0)
	v_cmp_lt_u64_e64 s[36:37], s[18:19], 3
	v_add_u32_e32 v2, s33, v1
	s_mul_i32 s33, s10, s4
	v_mov_b32_e32 v1, s33
	s_and_b64 vcc, exec, s[36:37]
	s_cbranch_vccnz .LBB0_11
; %bb.3:
	s_add_u32 s36, s30, 16
	s_addc_u32 s37, s31, 0
	s_add_u32 s38, s2, 16
	s_addc_u32 s39, s3, 0
	s_add_u32 s40, s0, 16
	v_mov_b32_e32 v5, s18
	s_addc_u32 s41, s1, 0
	s_mov_b64 s[42:43], 2
	s_mov_b32 s44, 0
	v_mov_b32_e32 v6, s19
	s_branch .LBB0_5
.LBB0_4:                                ;   in Loop: Header=BB0_5 Depth=1
	s_mul_i32 s33, s46, s35
	s_mul_hi_u32 s35, s46, s34
	s_add_i32 s33, s35, s33
	s_mul_i32 s35, s47, s34
	s_add_i32 s35, s33, s35
	s_mul_i32 s33, s0, s47
	s_mul_hi_u32 s45, s0, s46
	s_load_dwordx2 s[48:49], s[38:39], 0x0
	s_add_i32 s33, s45, s33
	s_mul_i32 s45, s1, s46
	s_add_i32 s33, s33, s45
	s_mul_i32 s45, s0, s46
	s_sub_u32 s45, s24, s45
	s_subb_u32 s33, s25, s33
	s_waitcnt lgkmcnt(0)
	s_mul_i32 s24, s48, s33
	s_mul_hi_u32 s25, s48, s45
	s_add_i32 s24, s25, s24
	s_mul_i32 s25, s49, s45
	s_add_i32 s24, s24, s25
	v_mov_b32_e32 v7, s24
	s_load_dwordx2 s[24:25], s[36:37], 0x0
	s_mul_i32 s34, s46, s34
	s_mul_i32 s46, s48, s45
	v_add_co_u32_e32 v3, vcc, s46, v3
	s_waitcnt lgkmcnt(0)
	s_mul_i32 s33, s24, s33
	s_mul_hi_u32 s46, s24, s45
	s_add_i32 s33, s46, s33
	s_mul_i32 s25, s25, s45
	s_add_i32 s25, s33, s25
	s_add_u32 s42, s42, 1
	s_addc_u32 s43, s43, 0
	v_addc_co_u32_e32 v4, vcc, v7, v4, vcc
	s_mul_i32 s24, s24, s45
	s_add_u32 s36, s36, 8
	v_mov_b32_e32 v7, s25
	v_add_co_u32_e32 v1, vcc, s24, v1
	s_addc_u32 s37, s37, 0
	v_addc_co_u32_e32 v2, vcc, v7, v2, vcc
	s_add_u32 s38, s38, 8
	s_addc_u32 s39, s39, 0
	v_cmp_ge_u64_e32 vcc, s[42:43], v[5:6]
	s_add_u32 s40, s40, 8
	s_addc_u32 s41, s41, 0
	s_mov_b64 s[24:25], s[0:1]
	s_cbranch_vccnz .LBB0_9
.LBB0_5:                                ; =>This Inner Loop Header: Depth=1
	s_load_dwordx2 s[46:47], s[40:41], 0x0
	s_waitcnt lgkmcnt(0)
	s_or_b64 s[0:1], s[24:25], s[46:47]
	s_mov_b32 s45, s1
	s_cmp_lg_u64 s[44:45], 0
	s_cbranch_scc0 .LBB0_7
; %bb.6:                                ;   in Loop: Header=BB0_5 Depth=1
	v_cvt_f32_u32_e32 v7, s46
	v_cvt_f32_u32_e32 v8, s47
	s_sub_u32 s0, 0, s46
	s_subb_u32 s1, 0, s47
	v_mac_f32_e32 v7, 0x4f800000, v8
	v_rcp_f32_e32 v7, v7
	v_mul_f32_e32 v7, 0x5f7ffffc, v7
	v_mul_f32_e32 v8, 0x2f800000, v7
	v_trunc_f32_e32 v8, v8
	v_mac_f32_e32 v7, 0xcf800000, v8
	v_cvt_u32_f32_e32 v8, v8
	v_cvt_u32_f32_e32 v7, v7
	v_readfirstlane_b32 s33, v8
	v_readfirstlane_b32 s45, v7
	s_mul_i32 s48, s0, s33
	s_mul_hi_u32 s50, s0, s45
	s_mul_i32 s49, s1, s45
	s_add_i32 s48, s50, s48
	s_mul_i32 s51, s0, s45
	s_add_i32 s48, s48, s49
	s_mul_hi_u32 s49, s45, s48
	s_mul_i32 s50, s45, s48
	s_mul_hi_u32 s45, s45, s51
	s_add_u32 s45, s45, s50
	s_addc_u32 s49, 0, s49
	s_mul_hi_u32 s52, s33, s51
	s_mul_i32 s51, s33, s51
	s_add_u32 s45, s45, s51
	s_mul_hi_u32 s50, s33, s48
	s_addc_u32 s45, s49, s52
	s_addc_u32 s49, s50, 0
	s_mul_i32 s48, s33, s48
	s_add_u32 s45, s45, s48
	s_addc_u32 s48, 0, s49
	v_add_co_u32_e32 v7, vcc, s45, v7
	s_cmp_lg_u64 vcc, 0
	s_addc_u32 s33, s33, s48
	v_readfirstlane_b32 s48, v7
	s_mul_i32 s45, s0, s33
	s_mul_hi_u32 s49, s0, s48
	s_add_i32 s45, s49, s45
	s_mul_i32 s1, s1, s48
	s_add_i32 s45, s45, s1
	s_mul_i32 s0, s0, s48
	s_mul_hi_u32 s49, s33, s0
	s_mul_i32 s50, s33, s0
	s_mul_i32 s52, s48, s45
	s_mul_hi_u32 s0, s48, s0
	s_mul_hi_u32 s51, s48, s45
	s_add_u32 s0, s0, s52
	s_addc_u32 s48, 0, s51
	s_add_u32 s0, s0, s50
	s_mul_hi_u32 s1, s33, s45
	s_addc_u32 s0, s48, s49
	s_addc_u32 s1, s1, 0
	s_mul_i32 s45, s33, s45
	s_add_u32 s0, s0, s45
	s_addc_u32 s1, 0, s1
	v_add_co_u32_e32 v7, vcc, s0, v7
	s_cmp_lg_u64 vcc, 0
	s_addc_u32 s0, s33, s1
	v_readfirstlane_b32 s45, v7
	s_mul_i32 s33, s24, s0
	s_mul_hi_u32 s48, s24, s45
	s_mul_hi_u32 s1, s24, s0
	s_add_u32 s33, s48, s33
	s_addc_u32 s1, 0, s1
	s_mul_hi_u32 s49, s25, s45
	s_mul_i32 s45, s25, s45
	s_add_u32 s33, s33, s45
	s_mul_hi_u32 s48, s25, s0
	s_addc_u32 s1, s1, s49
	s_addc_u32 s33, s48, 0
	s_mul_i32 s0, s25, s0
	s_add_u32 s45, s1, s0
	s_addc_u32 s33, 0, s33
	s_mul_i32 s0, s46, s33
	s_mul_hi_u32 s1, s46, s45
	s_add_i32 s0, s1, s0
	s_mul_i32 s1, s47, s45
	s_add_i32 s48, s0, s1
	s_mul_i32 s1, s46, s45
	v_mov_b32_e32 v7, s1
	s_sub_i32 s0, s25, s48
	v_sub_co_u32_e32 v7, vcc, s24, v7
	s_cmp_lg_u64 vcc, 0
	s_subb_u32 s49, s0, s47
	v_subrev_co_u32_e64 v8, s[0:1], s46, v7
	s_cmp_lg_u64 s[0:1], 0
	s_subb_u32 s0, s49, 0
	s_cmp_ge_u32 s0, s47
	v_readfirstlane_b32 s49, v8
	s_cselect_b32 s1, -1, 0
	s_cmp_ge_u32 s49, s46
	s_cselect_b32 s49, -1, 0
	s_cmp_eq_u32 s0, s47
	s_cselect_b32 s0, s49, s1
	s_add_u32 s1, s45, 1
	s_addc_u32 s49, s33, 0
	s_add_u32 s50, s45, 2
	s_addc_u32 s51, s33, 0
	s_cmp_lg_u32 s0, 0
	s_cselect_b32 s0, s50, s1
	s_cselect_b32 s1, s51, s49
	s_cmp_lg_u64 vcc, 0
	s_subb_u32 s48, s25, s48
	s_cmp_ge_u32 s48, s47
	v_readfirstlane_b32 s50, v7
	s_cselect_b32 s49, -1, 0
	s_cmp_ge_u32 s50, s46
	s_cselect_b32 s50, -1, 0
	s_cmp_eq_u32 s48, s47
	s_cselect_b32 s48, s50, s49
	s_cmp_lg_u32 s48, 0
	s_cselect_b32 s1, s1, s33
	s_cselect_b32 s0, s0, s45
	s_cbranch_execnz .LBB0_4
	s_branch .LBB0_8
.LBB0_7:                                ;   in Loop: Header=BB0_5 Depth=1
                                        ; implicit-def: $sgpr0_sgpr1
.LBB0_8:                                ;   in Loop: Header=BB0_5 Depth=1
	v_cvt_f32_u32_e32 v7, s46
	s_sub_i32 s0, 0, s46
	v_rcp_iflag_f32_e32 v7, v7
	v_mul_f32_e32 v7, 0x4f7ffffe, v7
	v_cvt_u32_f32_e32 v7, v7
	v_readfirstlane_b32 s1, v7
	s_mul_i32 s0, s0, s1
	s_mul_hi_u32 s0, s1, s0
	s_add_i32 s1, s1, s0
	s_mul_hi_u32 s0, s24, s1
	s_mul_i32 s33, s0, s46
	s_sub_i32 s33, s24, s33
	s_add_i32 s1, s0, 1
	s_sub_i32 s45, s33, s46
	s_cmp_ge_u32 s33, s46
	s_cselect_b32 s0, s1, s0
	s_cselect_b32 s33, s45, s33
	s_add_i32 s1, s0, 1
	s_cmp_ge_u32 s33, s46
	s_cselect_b32 s0, s1, s0
	s_mov_b32 s1, s44
	s_branch .LBB0_4
.LBB0_9:
	v_mov_b32_e32 v5, s34
	v_mov_b32_e32 v6, s35
	v_cmp_lt_u64_e32 vcc, s[6:7], v[5:6]
	s_mov_b64 s[24:25], 0
	s_cbranch_vccnz .LBB0_11
; %bb.10:
	v_cvt_f32_u32_e32 v5, s34
	s_sub_i32 s0, 0, s34
	v_rcp_iflag_f32_e32 v5, v5
	v_mul_f32_e32 v5, 0x4f7ffffe, v5
	v_cvt_u32_f32_e32 v5, v5
	v_readfirstlane_b32 s1, v5
	s_mul_i32 s0, s0, s1
	s_mul_hi_u32 s0, s1, s0
	s_add_i32 s1, s1, s0
	s_mul_hi_u32 s0, s6, s1
	s_mul_i32 s7, s0, s34
	s_sub_i32 s6, s6, s7
	s_add_i32 s1, s0, 1
	s_sub_i32 s7, s6, s34
	s_cmp_ge_u32 s6, s34
	s_cselect_b32 s0, s1, s0
	s_cselect_b32 s6, s7, s6
	s_add_i32 s1, s0, 1
	s_cmp_ge_u32 s6, s34
	s_cselect_b32 s24, s1, s0
.LBB0_11:
	s_lshl_b64 s[34:35], s[18:19], 3
	s_add_u32 s6, s30, s34
	s_addc_u32 s7, s31, s35
	s_add_u32 s0, s4, 16
	v_mov_b32_e32 v5, s28
	s_addc_u32 s1, s5, 0
	v_mov_b32_e32 v6, s29
	v_and_b32_e32 v11, 15, v0
	v_cmp_le_u64_e32 vcc, s[0:1], v[5:6]
	v_or_b32_e32 v5, s4, v11
	v_mov_b32_e32 v6, s5
	v_cmp_gt_u64_e64 s[0:1], s[28:29], v[5:6]
	v_lshrrev_b32_e32 v13, 4, v0
	s_or_b64 s[0:1], vcc, s[0:1]
	v_lshlrev_b32_e32 v12, 2, v13
	v_add_u32_e32 v10, 24, v13
	v_add_u32_e32 v9, 48, v13
	s_and_saveexec_b64 s[18:19], s[0:1]
	s_cbranch_execz .LBB0_13
; %bb.12:
	s_add_u32 s2, s2, s34
	s_addc_u32 s3, s3, s35
	s_load_dwordx2 s[2:3], s[2:3], 0x0
	v_mad_u64_u32 v[5:6], s[28:29], s22, v11, 0
	v_mad_u64_u32 v[7:8], s[28:29], s20, v13, 0
	s_waitcnt lgkmcnt(0)
	s_mul_i32 s3, s3, s24
	s_mul_hi_u32 s5, s2, s24
	v_mad_u64_u32 v[14:15], s[22:23], s23, v11, v[6:7]
	v_mov_b32_e32 v6, v8
	v_mad_u64_u32 v[15:16], s[22:23], s21, v13, v[6:7]
	s_add_i32 s3, s5, s3
	s_mul_i32 s2, s2, s24
	s_lshl_b64 s[2:3], s[2:3], 2
	s_add_u32 s2, s12, s2
	v_lshlrev_b64 v[3:4], 2, v[3:4]
	s_addc_u32 s3, s13, s3
	v_mov_b32_e32 v6, v14
	v_mov_b32_e32 v8, v15
	;; [unrolled: 1-line block ×3, first 2 shown]
	v_add_co_u32_e32 v15, vcc, s2, v3
	v_addc_co_u32_e32 v14, vcc, v14, v4, vcc
	v_lshlrev_b64 v[3:4], 2, v[5:6]
	v_mad_u64_u32 v[5:6], s[2:3], s20, v10, 0
	v_add_co_u32_e32 v16, vcc, v15, v3
	v_addc_co_u32_e32 v17, vcc, v14, v4, vcc
	v_lshlrev_b64 v[3:4], 2, v[7:8]
	v_mad_u64_u32 v[6:7], s[2:3], s21, v10, v[6:7]
	v_mad_u64_u32 v[7:8], s[2:3], s20, v9, 0
	v_add_co_u32_e32 v3, vcc, v16, v3
	v_mad_u64_u32 v[14:15], s[2:3], s21, v9, v[8:9]
	v_lshlrev_b64 v[5:6], 2, v[5:6]
	v_addc_co_u32_e32 v4, vcc, v17, v4, vcc
	v_mov_b32_e32 v8, v14
	v_add_co_u32_e32 v5, vcc, v16, v5
	v_lshlrev_b64 v[7:8], 2, v[7:8]
	v_addc_co_u32_e32 v6, vcc, v17, v6, vcc
	v_add_co_u32_e32 v7, vcc, v16, v7
	v_addc_co_u32_e32 v8, vcc, v17, v8, vcc
	global_load_dword v14, v[3:4], off
	global_load_dword v15, v[5:6], off
	;; [unrolled: 1-line block ×3, first 2 shown]
	v_mul_u32_u24_e32 v3, 0x120, v11
	v_add3_u32 v3, 0, v3, v12
	s_waitcnt vmcnt(1)
	ds_write2_b32 v3, v14, v15 offset1:24
	s_waitcnt vmcnt(0)
	ds_write_b32 v3, v16 offset:192
.LBB0_13:
	s_or_b64 exec, exec, s[18:19]
	s_mov_b32 s2, 0xaaab
	v_mul_u32_u24_sdwa v3, v0, s2 dst_sel:DWORD dst_unused:UNUSED_PAD src0_sel:WORD_0 src1_sel:DWORD
	v_lshrrev_b32_e32 v17, 20, v3
	v_mul_lo_u16_e32 v4, 24, v17
	v_and_b32_e32 v3, 15, v17
	v_sub_u16_e32 v16, v0, v4
	v_mul_lo_u16_e32 v3, 0x48, v3
	v_lshlrev_b32_e32 v0, 2, v16
	v_lshlrev_b32_e32 v15, 2, v3
	v_add_u32_e32 v18, 0, v0
	v_add3_u32 v14, 0, v15, v0
	v_add_u32_e32 v0, v18, v15
	s_waitcnt lgkmcnt(0)
	s_barrier
	ds_read2_b32 v[3:4], v0 offset0:9 offset1:18
	ds_read2_b32 v[5:6], v0 offset0:27 offset1:36
	;; [unrolled: 1-line block ×3, first 2 shown]
	ds_read_b32 v19, v14
	ds_read_b32 v20, v0 offset:252
	v_cmp_gt_u16_e32 vcc, 9, v16
	s_waitcnt lgkmcnt(0)
	s_barrier
	s_and_saveexec_b64 s[2:3], vcc
	s_cbranch_execz .LBB0_15
; %bb.14:
	v_pk_add_f16 v6, v19, v6 neg_lo:[0,1] neg_hi:[0,1]
	v_pk_add_f16 v8, v4, v8 neg_lo:[0,1] neg_hi:[0,1]
	;; [unrolled: 1-line block ×4, first 2 shown]
	v_sub_f16_sdwa v21, v6, v8 dst_sel:DWORD dst_unused:UNUSED_PAD src0_sel:DWORD src1_sel:WORD_1
	v_sub_f16_sdwa v22, v7, v20 dst_sel:DWORD dst_unused:UNUSED_PAD src0_sel:DWORD src1_sel:WORD_1
	s_movk_i32 s5, 0x39a8
	v_lshrrev_b32_e32 v24, 16, v7
	v_lshrrev_b32_e32 v27, 16, v6
	v_fma_f16 v23, v22, s5, v21
	v_add_f16_e32 v25, v24, v20
	s_mov_b32 s12, 0xb9a8
	v_add_f16_e32 v28, v27, v8
	v_fma_f16 v23, v25, s12, v23
	v_fma_f16 v29, v25, s5, v28
	v_fma_f16 v26, v21, 2.0, -v23
	v_fma_f16 v29, v22, s5, v29
	v_fma_f16 v21, v6, 2.0, -v21
	v_fma_f16 v22, v7, 2.0, -v22
	v_fma_f16 v31, v22, s12, v21
	v_fma_f16 v24, v24, 2.0, -v25
	v_fma_f16 v27, v27, 2.0, -v28
	v_pk_fma_f16 v6, v19, 2.0, v6 op_sel_hi:[1,0,1] neg_lo:[0,0,1] neg_hi:[0,0,1]
	v_pk_fma_f16 v4, v4, 2.0, v8 op_sel_hi:[1,0,1] neg_lo:[0,0,1] neg_hi:[0,0,1]
	;; [unrolled: 1-line block ×4, first 2 shown]
	v_fma_f16 v25, v24, s12, v31
	v_fma_f16 v24, v24, s12, v27
	v_pk_add_f16 v4, v6, v4 neg_lo:[0,1] neg_hi:[0,1]
	v_pk_add_f16 v5, v3, v5 neg_lo:[0,1] neg_hi:[0,1]
	v_fma_f16 v22, v22, s5, v24
	v_lshrrev_b32_e32 v8, 16, v4
	v_pk_fma_f16 v6, v6, 2.0, v4 op_sel_hi:[1,0,1] neg_lo:[0,0,1] neg_hi:[0,0,1]
	v_pk_fma_f16 v3, v3, 2.0, v5 op_sel_hi:[1,0,1] neg_lo:[0,0,1] neg_hi:[0,0,1]
	v_fma_f16 v21, v21, 2.0, -v25
	v_fma_f16 v24, v27, 2.0, -v22
	v_mul_u32_u24_e32 v27, 28, v16
	v_sub_f16_sdwa v7, v4, v5 dst_sel:DWORD dst_unused:UNUSED_PAD src0_sel:DWORD src1_sel:WORD_1
	v_add_f16_e32 v19, v8, v5
	v_pk_add_f16 v3, v6, v3 neg_lo:[0,1] neg_hi:[0,1]
	v_fma_f16 v30, v28, 2.0, -v29
	v_add3_u32 v18, v18, v27, v15
	v_fma_f16 v4, v4, 2.0, -v7
	v_fma_f16 v5, v8, 2.0, -v19
	v_pk_fma_f16 v6, v6, 2.0, v3 op_sel_hi:[1,0,1] neg_lo:[0,0,1] neg_hi:[0,0,1]
	v_pack_b32_f16 v8, v21, v24
	ds_write2_b32 v18, v6, v8 offset1:1
	v_pack_b32_f16 v6, v26, v30
	v_pack_b32_f16 v4, v4, v5
	ds_write2_b32 v18, v4, v6 offset0:2 offset1:3
	v_pack_b32_f16 v4, v25, v22
	ds_write2_b32 v18, v3, v4 offset0:4 offset1:5
	v_pack_b32_f16 v3, v23, v29
	v_pack_b32_f16 v4, v7, v19
	ds_write2_b32 v18, v4, v3 offset0:6 offset1:7
.LBB0_15:
	s_or_b64 exec, exec, s[2:3]
	v_and_b32_e32 v7, 7, v16
	v_lshlrev_b32_e32 v3, 3, v7
	s_load_dwordx2 s[2:3], s[6:7], 0x0
	s_waitcnt lgkmcnt(0)
	s_barrier
	global_load_dwordx2 v[3:4], v3, s[26:27]
	v_add_u32_sdwa v8, s4, v17 dst_sel:DWORD dst_unused:UNUSED_PAD src0_sel:DWORD src1_sel:WORD_0
	ds_read_b32 v17, v14
	ds_read2_b32 v[5:6], v0 offset0:24 offset1:48
	v_lshrrev_b32_e32 v18, 3, v16
	v_mul_u32_u24_e32 v18, 24, v18
	v_or_b32_e32 v7, v18, v7
	v_lshlrev_b32_e32 v7, 2, v7
	v_add3_u32 v7, 0, v7, v15
	s_waitcnt lgkmcnt(0)
	v_lshrrev_b32_e32 v15, 16, v6
	v_add_u32_e32 v21, 24, v16
	v_lshlrev_b32_e32 v19, 3, v16
	v_add_u32_e32 v22, 48, v16
	v_mul_lo_u32 v16, v8, v16
	v_mul_lo_u32 v21, v8, v21
	v_lshrrev_b32_e32 v18, 16, v17
	v_mul_lo_u32 v8, v8, v22
	s_movk_i32 s4, 0x3aee
	s_mov_b32 s5, 0xbaee
	v_mov_b32_e32 v20, 2
	v_lshlrev_b32_sdwa v22, v20, v16 dst_sel:DWORD dst_unused:UNUSED_PAD src0_sel:DWORD src1_sel:BYTE_0
	s_waitcnt vmcnt(0)
	s_barrier
	v_lshlrev_b32_sdwa v23, v20, v16 dst_sel:DWORD dst_unused:UNUSED_PAD src0_sel:DWORD src1_sel:BYTE_1
	v_lshlrev_b32_sdwa v24, v20, v21 dst_sel:DWORD dst_unused:UNUSED_PAD src0_sel:DWORD src1_sel:BYTE_0
	v_lshrrev_b32_e32 v25, 16, v3
	v_mul_f16_sdwa v26, v3, v5 dst_sel:DWORD dst_unused:UNUSED_PAD src0_sel:DWORD src1_sel:WORD_1
	v_mul_f16_sdwa v27, v4, v15 dst_sel:DWORD dst_unused:UNUSED_PAD src0_sel:WORD_1 src1_sel:DWORD
	v_mul_f16_sdwa v28, v4, v6 dst_sel:DWORD dst_unused:UNUSED_PAD src0_sel:WORD_1 src1_sel:DWORD
	v_mul_f16_sdwa v29, v25, v5 dst_sel:DWORD dst_unused:UNUSED_PAD src0_sel:DWORD src1_sel:WORD_1
	v_fma_f16 v25, v25, v5, v26
	v_fma_f16 v6, v4, v6, -v27
	v_fma_f16 v4, v4, v15, v28
	v_fma_f16 v3, v3, v5, -v29
	v_sub_f16_e32 v5, v25, v4
	v_add_f16_e32 v15, v25, v18
	v_add_f16_e32 v25, v25, v4
	;; [unrolled: 1-line block ×5, first 2 shown]
	v_fma_f16 v15, v25, -0.5, v18
	v_sub_f16_e32 v3, v3, v6
	v_fma_f16 v17, v27, -0.5, v17
	v_add_f16_e32 v6, v26, v6
	v_fma_f16 v18, v3, s5, v15
	v_fma_f16 v3, v3, s4, v15
	;; [unrolled: 1-line block ×4, first 2 shown]
	v_pack_b32_f16 v4, v6, v4
	v_pack_b32_f16 v6, v15, v18
	;; [unrolled: 1-line block ×3, first 2 shown]
	v_lshlrev_b32_sdwa v5, v20, v21 dst_sel:DWORD dst_unused:UNUSED_PAD src0_sel:DWORD src1_sel:BYTE_1
	ds_write2_b32 v7, v4, v6 offset1:8
	ds_write_b32 v7, v3 offset:64
	s_waitcnt lgkmcnt(0)
	s_barrier
	global_load_dwordx2 v[3:4], v19, s[26:27] offset:64
	v_lshlrev_b32_sdwa v6, v20, v8 dst_sel:DWORD dst_unused:UNUSED_PAD src0_sel:DWORD src1_sel:BYTE_0
	v_lshlrev_b32_sdwa v7, v20, v8 dst_sel:DWORD dst_unused:UNUSED_PAD src0_sel:DWORD src1_sel:BYTE_1
	global_load_dword v15, v22, s[16:17]
	global_load_dword v17, v23, s[16:17] offset:1024
	global_load_dword v18, v24, s[16:17]
	global_load_dword v19, v5, s[16:17] offset:1024
	;; [unrolled: 2-line block ×3, first 2 shown]
	v_lshlrev_b32_sdwa v5, v20, v16 dst_sel:DWORD dst_unused:UNUSED_PAD src0_sel:DWORD src1_sel:BYTE_2
	global_load_dword v7, v5, s[16:17] offset:2048
	v_lshlrev_b32_sdwa v5, v20, v21 dst_sel:DWORD dst_unused:UNUSED_PAD src0_sel:DWORD src1_sel:BYTE_2
	global_load_dword v16, v5, s[16:17] offset:2048
	;; [unrolled: 2-line block ×3, first 2 shown]
	ds_read2_b32 v[5:6], v0 offset0:24 offset1:48
	ds_read_b32 v14, v14
	s_waitcnt vmcnt(0) lgkmcnt(0)
	s_barrier
	v_lshrrev_b32_e32 v20, 16, v6
	v_lshrrev_b32_e32 v21, 16, v14
	;; [unrolled: 1-line block ×3, first 2 shown]
	v_mul_f16_sdwa v29, v15, v17 dst_sel:DWORD dst_unused:UNUSED_PAD src0_sel:DWORD src1_sel:WORD_1
	v_lshrrev_b32_e32 v22, 16, v3
	v_mul_f16_sdwa v23, v3, v5 dst_sel:DWORD dst_unused:UNUSED_PAD src0_sel:DWORD src1_sel:WORD_1
	v_mul_f16_sdwa v24, v4, v20 dst_sel:DWORD dst_unused:UNUSED_PAD src0_sel:WORD_1 src1_sel:DWORD
	v_mul_f16_sdwa v27, v4, v6 dst_sel:DWORD dst_unused:UNUSED_PAD src0_sel:WORD_1 src1_sel:DWORD
	v_lshrrev_b32_e32 v30, 16, v18
	v_mul_f16_sdwa v31, v18, v19 dst_sel:DWORD dst_unused:UNUSED_PAD src0_sel:DWORD src1_sel:WORD_1
	v_lshrrev_b32_e32 v32, 16, v25
	v_mul_f16_sdwa v33, v25, v26 dst_sel:DWORD dst_unused:UNUSED_PAD src0_sel:DWORD src1_sel:WORD_1
	v_mul_f16_sdwa v34, v22, v5 dst_sel:DWORD dst_unused:UNUSED_PAD src0_sel:DWORD src1_sel:WORD_1
	v_fma_f16 v22, v22, v5, v23
	v_fma_f16 v6, v4, v6, -v24
	v_fma_f16 v4, v4, v20, v27
	v_mul_f16_sdwa v20, v28, v17 dst_sel:DWORD dst_unused:UNUSED_PAD src0_sel:DWORD src1_sel:WORD_1
	v_fma_f16 v23, v28, v17, v29
	v_mul_f16_sdwa v24, v30, v19 dst_sel:DWORD dst_unused:UNUSED_PAD src0_sel:DWORD src1_sel:WORD_1
	;; [unrolled: 2-line block ×3, first 2 shown]
	v_fma_f16 v29, v32, v26, v33
	v_fma_f16 v3, v3, v5, -v34
	v_fma_f16 v15, v15, v17, -v20
	v_mul_f16_sdwa v17, v23, v7 dst_sel:DWORD dst_unused:UNUSED_PAD src0_sel:DWORD src1_sel:WORD_1
	v_sub_f16_e32 v5, v22, v4
	v_add_f16_e32 v30, v22, v21
	v_add_f16_e32 v22, v22, v4
	v_fma_f16 v18, v18, v19, -v24
	v_mul_f16_sdwa v19, v27, v16 dst_sel:DWORD dst_unused:UNUSED_PAD src0_sel:DWORD src1_sel:WORD_1
	v_fma_f16 v20, v25, v26, -v28
	v_mul_f16_sdwa v24, v29, v8 dst_sel:DWORD dst_unused:UNUSED_PAD src0_sel:DWORD src1_sel:WORD_1
	v_add_f16_e32 v26, v3, v6
	v_fma_f16 v17, v7, v15, -v17
	v_mul_f16_sdwa v15, v15, v7 dst_sel:DWORD dst_unused:UNUSED_PAD src0_sel:DWORD src1_sel:WORD_1
	v_add_f16_e32 v25, v3, v14
	v_add_f16_e32 v4, v30, v4
	v_fma_f16 v21, v22, -0.5, v21
	v_sub_f16_e32 v3, v3, v6
	v_fma_f16 v19, v16, v18, -v19
	v_mul_f16_sdwa v18, v18, v16 dst_sel:DWORD dst_unused:UNUSED_PAD src0_sel:DWORD src1_sel:WORD_1
	v_fma_f16 v22, v8, v20, -v24
	v_mul_f16_sdwa v20, v20, v8 dst_sel:DWORD dst_unused:UNUSED_PAD src0_sel:DWORD src1_sel:WORD_1
	v_fma_f16 v14, v26, -0.5, v14
	v_fma_f16 v7, v7, v23, v15
	v_add_f16_e32 v6, v25, v6
	v_fma_f16 v24, v3, s5, v21
	v_fma_f16 v3, v3, s4, v21
	;; [unrolled: 1-line block ×6, first 2 shown]
	v_mul_f16_e32 v14, v4, v7
	v_mul_f16_e32 v7, v6, v7
	;; [unrolled: 1-line block ×4, first 2 shown]
	v_fma_f16 v6, v6, v17, -v14
	v_mul_f16_e32 v14, v16, v15
	v_fma_f16 v4, v4, v17, v7
	v_fma_f16 v7, v16, v19, -v18
	v_fma_f16 v15, v5, v22, -v20
	v_mul_f16_e32 v5, v5, v8
	v_fma_f16 v8, v24, v19, v14
	v_fma_f16 v3, v3, v22, v5
	v_pack_b32_f16 v4, v6, v4
	v_pack_b32_f16 v5, v7, v8
	;; [unrolled: 1-line block ×3, first 2 shown]
	ds_write2_b32 v0, v4, v5 offset1:24
	ds_write_b32 v0, v3 offset:192
	s_waitcnt lgkmcnt(0)
	s_barrier
	s_and_saveexec_b64 s[4:5], s[0:1]
	s_cbranch_execz .LBB0_17
; %bb.16:
	v_mad_u64_u32 v[3:4], s[0:1], s10, v11, 0
	v_mad_u64_u32 v[5:6], s[0:1], s8, v13, 0
	v_mov_b32_e32 v0, v4
	v_mad_u64_u32 v[7:8], s[0:1], s11, v11, v[0:1]
	v_mov_b32_e32 v0, v6
	s_mul_i32 s3, s3, s24
	s_mul_hi_u32 s4, s2, s24
	v_mad_u64_u32 v[13:14], s[0:1], s9, v13, v[0:1]
	s_add_i32 s1, s4, s3
	s_mul_i32 s0, s2, s24
	v_mul_u32_u24_e32 v0, 0x120, v11
	s_lshl_b64 s[0:1], s[0:1], 2
	v_add3_u32 v11, 0, v0, v12
	s_add_u32 s0, s14, s0
	v_lshlrev_b64 v[0:1], 2, v[1:2]
	s_addc_u32 s1, s15, s1
	v_mov_b32_e32 v4, v7
	v_mov_b32_e32 v2, s1
	v_add_co_u32_e32 v12, vcc, s0, v0
	v_addc_co_u32_e32 v2, vcc, v2, v1, vcc
	v_lshlrev_b64 v[0:1], 2, v[3:4]
	v_mov_b32_e32 v6, v13
	v_add_co_u32_e32 v12, vcc, v12, v0
	v_addc_co_u32_e32 v13, vcc, v2, v1, vcc
	v_mad_u64_u32 v[2:3], s[0:1], s8, v10, 0
	ds_read2_b32 v[7:8], v11 offset1:24
	v_lshlrev_b64 v[0:1], 2, v[5:6]
	v_mad_u64_u32 v[3:4], s[0:1], s9, v10, v[3:4]
	v_mad_u64_u32 v[4:5], s[0:1], s8, v9, 0
	v_add_co_u32_e32 v0, vcc, v12, v0
	v_addc_co_u32_e32 v1, vcc, v13, v1, vcc
	s_waitcnt lgkmcnt(0)
	global_store_dword v[0:1], v7, off
	v_lshlrev_b64 v[0:1], 2, v[2:3]
	v_mov_b32_e32 v2, v5
	v_mad_u64_u32 v[2:3], s[0:1], s9, v9, v[2:3]
	v_add_co_u32_e32 v0, vcc, v12, v0
	v_addc_co_u32_e32 v1, vcc, v13, v1, vcc
	v_mov_b32_e32 v5, v2
	ds_read_b32 v2, v11 offset:192
	global_store_dword v[0:1], v8, off
	v_lshlrev_b64 v[0:1], 2, v[4:5]
	v_add_co_u32_e32 v0, vcc, v12, v0
	v_addc_co_u32_e32 v1, vcc, v13, v1, vcc
	s_waitcnt lgkmcnt(0)
	global_store_dword v[0:1], v2, off
.LBB0_17:
	s_endpgm
	.section	.rodata,"a",@progbits
	.p2align	6, 0x0
	.amdhsa_kernel fft_rtc_fwd_len72_factors_8_3_3_wgs_384_tpt_24_half_op_CI_CI_sbcc_twdbase8_3step
		.amdhsa_group_segment_fixed_size 0
		.amdhsa_private_segment_fixed_size 0
		.amdhsa_kernarg_size 112
		.amdhsa_user_sgpr_count 6
		.amdhsa_user_sgpr_private_segment_buffer 1
		.amdhsa_user_sgpr_dispatch_ptr 0
		.amdhsa_user_sgpr_queue_ptr 0
		.amdhsa_user_sgpr_kernarg_segment_ptr 1
		.amdhsa_user_sgpr_dispatch_id 0
		.amdhsa_user_sgpr_flat_scratch_init 0
		.amdhsa_user_sgpr_private_segment_size 0
		.amdhsa_uses_dynamic_stack 0
		.amdhsa_system_sgpr_private_segment_wavefront_offset 0
		.amdhsa_system_sgpr_workgroup_id_x 1
		.amdhsa_system_sgpr_workgroup_id_y 0
		.amdhsa_system_sgpr_workgroup_id_z 0
		.amdhsa_system_sgpr_workgroup_info 0
		.amdhsa_system_vgpr_workitem_id 0
		.amdhsa_next_free_vgpr 35
		.amdhsa_next_free_sgpr 53
		.amdhsa_reserve_vcc 1
		.amdhsa_reserve_flat_scratch 0
		.amdhsa_float_round_mode_32 0
		.amdhsa_float_round_mode_16_64 0
		.amdhsa_float_denorm_mode_32 3
		.amdhsa_float_denorm_mode_16_64 3
		.amdhsa_dx10_clamp 1
		.amdhsa_ieee_mode 1
		.amdhsa_fp16_overflow 0
		.amdhsa_exception_fp_ieee_invalid_op 0
		.amdhsa_exception_fp_denorm_src 0
		.amdhsa_exception_fp_ieee_div_zero 0
		.amdhsa_exception_fp_ieee_overflow 0
		.amdhsa_exception_fp_ieee_underflow 0
		.amdhsa_exception_fp_ieee_inexact 0
		.amdhsa_exception_int_div_zero 0
	.end_amdhsa_kernel
	.text
.Lfunc_end0:
	.size	fft_rtc_fwd_len72_factors_8_3_3_wgs_384_tpt_24_half_op_CI_CI_sbcc_twdbase8_3step, .Lfunc_end0-fft_rtc_fwd_len72_factors_8_3_3_wgs_384_tpt_24_half_op_CI_CI_sbcc_twdbase8_3step
                                        ; -- End function
	.section	.AMDGPU.csdata,"",@progbits
; Kernel info:
; codeLenInByte = 3472
; NumSgprs: 57
; NumVgprs: 35
; ScratchSize: 0
; MemoryBound: 0
; FloatMode: 240
; IeeeMode: 1
; LDSByteSize: 0 bytes/workgroup (compile time only)
; SGPRBlocks: 7
; VGPRBlocks: 8
; NumSGPRsForWavesPerEU: 57
; NumVGPRsForWavesPerEU: 35
; Occupancy: 7
; WaveLimiterHint : 1
; COMPUTE_PGM_RSRC2:SCRATCH_EN: 0
; COMPUTE_PGM_RSRC2:USER_SGPR: 6
; COMPUTE_PGM_RSRC2:TRAP_HANDLER: 0
; COMPUTE_PGM_RSRC2:TGID_X_EN: 1
; COMPUTE_PGM_RSRC2:TGID_Y_EN: 0
; COMPUTE_PGM_RSRC2:TGID_Z_EN: 0
; COMPUTE_PGM_RSRC2:TIDIG_COMP_CNT: 0
	.type	__hip_cuid_38c03f43f0eeb58e,@object ; @__hip_cuid_38c03f43f0eeb58e
	.section	.bss,"aw",@nobits
	.globl	__hip_cuid_38c03f43f0eeb58e
__hip_cuid_38c03f43f0eeb58e:
	.byte	0                               ; 0x0
	.size	__hip_cuid_38c03f43f0eeb58e, 1

	.ident	"AMD clang version 19.0.0git (https://github.com/RadeonOpenCompute/llvm-project roc-6.4.0 25133 c7fe45cf4b819c5991fe208aaa96edf142730f1d)"
	.section	".note.GNU-stack","",@progbits
	.addrsig
	.addrsig_sym __hip_cuid_38c03f43f0eeb58e
	.amdgpu_metadata
---
amdhsa.kernels:
  - .args:
      - .actual_access:  read_only
        .address_space:  global
        .offset:         0
        .size:           8
        .value_kind:     global_buffer
      - .address_space:  global
        .offset:         8
        .size:           8
        .value_kind:     global_buffer
      - .offset:         16
        .size:           8
        .value_kind:     by_value
      - .actual_access:  read_only
        .address_space:  global
        .offset:         24
        .size:           8
        .value_kind:     global_buffer
      - .actual_access:  read_only
        .address_space:  global
        .offset:         32
        .size:           8
        .value_kind:     global_buffer
      - .actual_access:  read_only
        .address_space:  global
        .offset:         40
        .size:           8
        .value_kind:     global_buffer
      - .offset:         48
        .size:           8
        .value_kind:     by_value
      - .actual_access:  read_only
        .address_space:  global
        .offset:         56
        .size:           8
        .value_kind:     global_buffer
      - .actual_access:  read_only
        .address_space:  global
        .offset:         64
        .size:           8
        .value_kind:     global_buffer
      - .offset:         72
        .size:           4
        .value_kind:     by_value
      - .actual_access:  read_only
        .address_space:  global
        .offset:         80
        .size:           8
        .value_kind:     global_buffer
      - .actual_access:  read_only
        .address_space:  global
        .offset:         88
        .size:           8
        .value_kind:     global_buffer
      - .actual_access:  read_only
        .address_space:  global
        .offset:         96
        .size:           8
        .value_kind:     global_buffer
      - .actual_access:  write_only
        .address_space:  global
        .offset:         104
        .size:           8
        .value_kind:     global_buffer
    .group_segment_fixed_size: 0
    .kernarg_segment_align: 8
    .kernarg_segment_size: 112
    .language:       OpenCL C
    .language_version:
      - 2
      - 0
    .max_flat_workgroup_size: 384
    .name:           fft_rtc_fwd_len72_factors_8_3_3_wgs_384_tpt_24_half_op_CI_CI_sbcc_twdbase8_3step
    .private_segment_fixed_size: 0
    .sgpr_count:     57
    .sgpr_spill_count: 0
    .symbol:         fft_rtc_fwd_len72_factors_8_3_3_wgs_384_tpt_24_half_op_CI_CI_sbcc_twdbase8_3step.kd
    .uniform_work_group_size: 1
    .uses_dynamic_stack: false
    .vgpr_count:     35
    .vgpr_spill_count: 0
    .wavefront_size: 64
amdhsa.target:   amdgcn-amd-amdhsa--gfx906
amdhsa.version:
  - 1
  - 2
...

	.end_amdgpu_metadata
